;; amdgpu-corpus repo=ROCm/rocFFT kind=compiled arch=gfx1201 opt=O3
	.text
	.amdgcn_target "amdgcn-amd-amdhsa--gfx1201"
	.amdhsa_code_object_version 6
	.protected	fft_rtc_back_len605_factors_11_5_11_wgs_55_tpt_55_dp_ip_CI_sbrr_dirReg ; -- Begin function fft_rtc_back_len605_factors_11_5_11_wgs_55_tpt_55_dp_ip_CI_sbrr_dirReg
	.globl	fft_rtc_back_len605_factors_11_5_11_wgs_55_tpt_55_dp_ip_CI_sbrr_dirReg
	.p2align	8
	.type	fft_rtc_back_len605_factors_11_5_11_wgs_55_tpt_55_dp_ip_CI_sbrr_dirReg,@function
fft_rtc_back_len605_factors_11_5_11_wgs_55_tpt_55_dp_ip_CI_sbrr_dirReg: ; @fft_rtc_back_len605_factors_11_5_11_wgs_55_tpt_55_dp_ip_CI_sbrr_dirReg
; %bb.0:
	s_clause 0x2
	s_load_b64 s[12:13], s[0:1], 0x18
	s_load_b128 s[4:7], s[0:1], 0x0
	s_load_b64 s[10:11], s[0:1], 0x50
	v_mul_u32_u24_e32 v1, 0x4a8, v0
	v_mov_b32_e32 v3, 0
	s_delay_alu instid0(VALU_DEP_2) | instskip(NEXT) | instid1(VALU_DEP_1)
	v_lshrrev_b32_e32 v1, 16, v1
	v_add_nc_u32_e32 v5, ttmp9, v1
	v_mov_b32_e32 v1, 0
	v_mov_b32_e32 v2, 0
	;; [unrolled: 1-line block ×3, first 2 shown]
	s_wait_kmcnt 0x0
	s_load_b64 s[8:9], s[12:13], 0x0
	v_cmp_lt_u64_e64 s2, s[6:7], 2
	s_delay_alu instid0(VALU_DEP_1)
	s_and_b32 vcc_lo, exec_lo, s2
	s_cbranch_vccnz .LBB0_8
; %bb.1:
	s_load_b64 s[2:3], s[0:1], 0x10
	v_mov_b32_e32 v1, 0
	v_mov_b32_e32 v2, 0
	s_add_nc_u64 s[14:15], s[12:13], 8
	s_mov_b64 s[16:17], 1
	s_wait_kmcnt 0x0
	s_add_nc_u64 s[18:19], s[2:3], 8
	s_mov_b32 s3, 0
.LBB0_2:                                ; =>This Inner Loop Header: Depth=1
	s_load_b64 s[20:21], s[18:19], 0x0
                                        ; implicit-def: $vgpr7_vgpr8
	s_mov_b32 s2, exec_lo
	s_wait_kmcnt 0x0
	v_or_b32_e32 v4, s21, v6
	s_delay_alu instid0(VALU_DEP_1)
	v_cmpx_ne_u64_e32 0, v[3:4]
	s_wait_alu 0xfffe
	s_xor_b32 s22, exec_lo, s2
	s_cbranch_execz .LBB0_4
; %bb.3:                                ;   in Loop: Header=BB0_2 Depth=1
	s_cvt_f32_u32 s2, s20
	s_cvt_f32_u32 s23, s21
	s_sub_nc_u64 s[26:27], 0, s[20:21]
	s_wait_alu 0xfffe
	s_delay_alu instid0(SALU_CYCLE_1) | instskip(SKIP_1) | instid1(SALU_CYCLE_2)
	s_fmamk_f32 s2, s23, 0x4f800000, s2
	s_wait_alu 0xfffe
	v_s_rcp_f32 s2, s2
	s_delay_alu instid0(TRANS32_DEP_1) | instskip(SKIP_1) | instid1(SALU_CYCLE_2)
	s_mul_f32 s2, s2, 0x5f7ffffc
	s_wait_alu 0xfffe
	s_mul_f32 s23, s2, 0x2f800000
	s_wait_alu 0xfffe
	s_delay_alu instid0(SALU_CYCLE_2) | instskip(SKIP_1) | instid1(SALU_CYCLE_2)
	s_trunc_f32 s23, s23
	s_wait_alu 0xfffe
	s_fmamk_f32 s2, s23, 0xcf800000, s2
	s_cvt_u32_f32 s25, s23
	s_wait_alu 0xfffe
	s_delay_alu instid0(SALU_CYCLE_1) | instskip(SKIP_1) | instid1(SALU_CYCLE_2)
	s_cvt_u32_f32 s24, s2
	s_wait_alu 0xfffe
	s_mul_u64 s[28:29], s[26:27], s[24:25]
	s_wait_alu 0xfffe
	s_mul_hi_u32 s31, s24, s29
	s_mul_i32 s30, s24, s29
	s_mul_hi_u32 s2, s24, s28
	s_mul_i32 s33, s25, s28
	s_wait_alu 0xfffe
	s_add_nc_u64 s[30:31], s[2:3], s[30:31]
	s_mul_hi_u32 s23, s25, s28
	s_mul_hi_u32 s34, s25, s29
	s_add_co_u32 s2, s30, s33
	s_wait_alu 0xfffe
	s_add_co_ci_u32 s2, s31, s23
	s_mul_i32 s28, s25, s29
	s_add_co_ci_u32 s29, s34, 0
	s_wait_alu 0xfffe
	s_add_nc_u64 s[28:29], s[2:3], s[28:29]
	s_wait_alu 0xfffe
	v_add_co_u32 v4, s2, s24, s28
	s_delay_alu instid0(VALU_DEP_1) | instskip(SKIP_1) | instid1(VALU_DEP_1)
	s_cmp_lg_u32 s2, 0
	s_add_co_ci_u32 s25, s25, s29
	v_readfirstlane_b32 s24, v4
	s_wait_alu 0xfffe
	s_delay_alu instid0(VALU_DEP_1)
	s_mul_u64 s[26:27], s[26:27], s[24:25]
	s_wait_alu 0xfffe
	s_mul_hi_u32 s29, s24, s27
	s_mul_i32 s28, s24, s27
	s_mul_hi_u32 s2, s24, s26
	s_mul_i32 s30, s25, s26
	s_wait_alu 0xfffe
	s_add_nc_u64 s[28:29], s[2:3], s[28:29]
	s_mul_hi_u32 s23, s25, s26
	s_mul_hi_u32 s24, s25, s27
	s_wait_alu 0xfffe
	s_add_co_u32 s2, s28, s30
	s_add_co_ci_u32 s2, s29, s23
	s_mul_i32 s26, s25, s27
	s_add_co_ci_u32 s27, s24, 0
	s_wait_alu 0xfffe
	s_add_nc_u64 s[26:27], s[2:3], s[26:27]
	s_wait_alu 0xfffe
	v_add_co_u32 v4, s2, v4, s26
	s_delay_alu instid0(VALU_DEP_1) | instskip(SKIP_1) | instid1(VALU_DEP_1)
	s_cmp_lg_u32 s2, 0
	s_add_co_ci_u32 s2, s25, s27
	v_mul_hi_u32 v13, v5, v4
	s_wait_alu 0xfffe
	v_mad_co_u64_u32 v[7:8], null, v5, s2, 0
	v_mad_co_u64_u32 v[9:10], null, v6, v4, 0
	;; [unrolled: 1-line block ×3, first 2 shown]
	s_delay_alu instid0(VALU_DEP_3) | instskip(SKIP_1) | instid1(VALU_DEP_4)
	v_add_co_u32 v4, vcc_lo, v13, v7
	s_wait_alu 0xfffd
	v_add_co_ci_u32_e32 v7, vcc_lo, 0, v8, vcc_lo
	s_delay_alu instid0(VALU_DEP_2) | instskip(SKIP_1) | instid1(VALU_DEP_2)
	v_add_co_u32 v4, vcc_lo, v4, v9
	s_wait_alu 0xfffd
	v_add_co_ci_u32_e32 v4, vcc_lo, v7, v10, vcc_lo
	s_wait_alu 0xfffd
	v_add_co_ci_u32_e32 v7, vcc_lo, 0, v12, vcc_lo
	s_delay_alu instid0(VALU_DEP_2) | instskip(SKIP_1) | instid1(VALU_DEP_2)
	v_add_co_u32 v4, vcc_lo, v4, v11
	s_wait_alu 0xfffd
	v_add_co_ci_u32_e32 v9, vcc_lo, 0, v7, vcc_lo
	s_delay_alu instid0(VALU_DEP_2) | instskip(SKIP_1) | instid1(VALU_DEP_3)
	v_mul_lo_u32 v10, s21, v4
	v_mad_co_u64_u32 v[7:8], null, s20, v4, 0
	v_mul_lo_u32 v11, s20, v9
	s_delay_alu instid0(VALU_DEP_2) | instskip(NEXT) | instid1(VALU_DEP_2)
	v_sub_co_u32 v7, vcc_lo, v5, v7
	v_add3_u32 v8, v8, v11, v10
	s_delay_alu instid0(VALU_DEP_1) | instskip(SKIP_1) | instid1(VALU_DEP_1)
	v_sub_nc_u32_e32 v10, v6, v8
	s_wait_alu 0xfffd
	v_subrev_co_ci_u32_e64 v10, s2, s21, v10, vcc_lo
	v_add_co_u32 v11, s2, v4, 2
	s_wait_alu 0xf1ff
	v_add_co_ci_u32_e64 v12, s2, 0, v9, s2
	v_sub_co_u32 v13, s2, v7, s20
	v_sub_co_ci_u32_e32 v8, vcc_lo, v6, v8, vcc_lo
	s_wait_alu 0xf1ff
	v_subrev_co_ci_u32_e64 v10, s2, 0, v10, s2
	s_delay_alu instid0(VALU_DEP_3) | instskip(NEXT) | instid1(VALU_DEP_3)
	v_cmp_le_u32_e32 vcc_lo, s20, v13
	v_cmp_eq_u32_e64 s2, s21, v8
	s_wait_alu 0xfffd
	v_cndmask_b32_e64 v13, 0, -1, vcc_lo
	v_cmp_le_u32_e32 vcc_lo, s21, v10
	s_wait_alu 0xfffd
	v_cndmask_b32_e64 v14, 0, -1, vcc_lo
	v_cmp_le_u32_e32 vcc_lo, s20, v7
	;; [unrolled: 3-line block ×3, first 2 shown]
	s_wait_alu 0xfffd
	v_cndmask_b32_e64 v15, 0, -1, vcc_lo
	v_cmp_eq_u32_e32 vcc_lo, s21, v10
	s_wait_alu 0xf1ff
	s_delay_alu instid0(VALU_DEP_2)
	v_cndmask_b32_e64 v7, v15, v7, s2
	s_wait_alu 0xfffd
	v_cndmask_b32_e32 v10, v14, v13, vcc_lo
	v_add_co_u32 v13, vcc_lo, v4, 1
	s_wait_alu 0xfffd
	v_add_co_ci_u32_e32 v14, vcc_lo, 0, v9, vcc_lo
	s_delay_alu instid0(VALU_DEP_3) | instskip(SKIP_2) | instid1(VALU_DEP_3)
	v_cmp_ne_u32_e32 vcc_lo, 0, v10
	s_wait_alu 0xfffd
	v_cndmask_b32_e32 v10, v13, v11, vcc_lo
	v_cndmask_b32_e32 v8, v14, v12, vcc_lo
	v_cmp_ne_u32_e32 vcc_lo, 0, v7
	s_wait_alu 0xfffd
	s_delay_alu instid0(VALU_DEP_2)
	v_dual_cndmask_b32 v7, v4, v10 :: v_dual_cndmask_b32 v8, v9, v8
.LBB0_4:                                ;   in Loop: Header=BB0_2 Depth=1
	s_wait_alu 0xfffe
	s_and_not1_saveexec_b32 s2, s22
	s_cbranch_execz .LBB0_6
; %bb.5:                                ;   in Loop: Header=BB0_2 Depth=1
	v_cvt_f32_u32_e32 v4, s20
	s_sub_co_i32 s22, 0, s20
	s_delay_alu instid0(VALU_DEP_1) | instskip(NEXT) | instid1(TRANS32_DEP_1)
	v_rcp_iflag_f32_e32 v4, v4
	v_mul_f32_e32 v4, 0x4f7ffffe, v4
	s_delay_alu instid0(VALU_DEP_1) | instskip(SKIP_1) | instid1(VALU_DEP_1)
	v_cvt_u32_f32_e32 v4, v4
	s_wait_alu 0xfffe
	v_mul_lo_u32 v7, s22, v4
	s_delay_alu instid0(VALU_DEP_1) | instskip(NEXT) | instid1(VALU_DEP_1)
	v_mul_hi_u32 v7, v4, v7
	v_add_nc_u32_e32 v4, v4, v7
	s_delay_alu instid0(VALU_DEP_1) | instskip(NEXT) | instid1(VALU_DEP_1)
	v_mul_hi_u32 v4, v5, v4
	v_mul_lo_u32 v7, v4, s20
	v_add_nc_u32_e32 v8, 1, v4
	s_delay_alu instid0(VALU_DEP_2) | instskip(NEXT) | instid1(VALU_DEP_1)
	v_sub_nc_u32_e32 v7, v5, v7
	v_subrev_nc_u32_e32 v9, s20, v7
	v_cmp_le_u32_e32 vcc_lo, s20, v7
	s_wait_alu 0xfffd
	s_delay_alu instid0(VALU_DEP_2) | instskip(NEXT) | instid1(VALU_DEP_1)
	v_dual_cndmask_b32 v7, v7, v9 :: v_dual_cndmask_b32 v4, v4, v8
	v_cmp_le_u32_e32 vcc_lo, s20, v7
	s_delay_alu instid0(VALU_DEP_2) | instskip(SKIP_1) | instid1(VALU_DEP_1)
	v_add_nc_u32_e32 v8, 1, v4
	s_wait_alu 0xfffd
	v_dual_cndmask_b32 v7, v4, v8 :: v_dual_mov_b32 v8, v3
.LBB0_6:                                ;   in Loop: Header=BB0_2 Depth=1
	s_wait_alu 0xfffe
	s_or_b32 exec_lo, exec_lo, s2
	s_load_b64 s[22:23], s[14:15], 0x0
	s_delay_alu instid0(VALU_DEP_1)
	v_mul_lo_u32 v4, v8, s20
	v_mul_lo_u32 v11, v7, s21
	v_mad_co_u64_u32 v[9:10], null, v7, s20, 0
	s_add_nc_u64 s[16:17], s[16:17], 1
	s_add_nc_u64 s[14:15], s[14:15], 8
	s_wait_alu 0xfffe
	v_cmp_ge_u64_e64 s2, s[16:17], s[6:7]
	s_add_nc_u64 s[18:19], s[18:19], 8
	s_delay_alu instid0(VALU_DEP_2) | instskip(NEXT) | instid1(VALU_DEP_3)
	v_add3_u32 v4, v10, v11, v4
	v_sub_co_u32 v5, vcc_lo, v5, v9
	s_wait_alu 0xfffd
	s_delay_alu instid0(VALU_DEP_2) | instskip(SKIP_3) | instid1(VALU_DEP_2)
	v_sub_co_ci_u32_e32 v4, vcc_lo, v6, v4, vcc_lo
	s_and_b32 vcc_lo, exec_lo, s2
	s_wait_kmcnt 0x0
	v_mul_lo_u32 v6, s23, v5
	v_mul_lo_u32 v4, s22, v4
	v_mad_co_u64_u32 v[1:2], null, s22, v5, v[1:2]
	s_delay_alu instid0(VALU_DEP_1)
	v_add3_u32 v2, v6, v2, v4
	s_wait_alu 0xfffe
	s_cbranch_vccnz .LBB0_9
; %bb.7:                                ;   in Loop: Header=BB0_2 Depth=1
	v_dual_mov_b32 v5, v7 :: v_dual_mov_b32 v6, v8
	s_branch .LBB0_2
.LBB0_8:
	v_dual_mov_b32 v8, v6 :: v_dual_mov_b32 v7, v5
.LBB0_9:
	s_lshl_b64 s[2:3], s[6:7], 3
	v_mul_hi_u32 v3, 0x4a7904b, v0
	s_wait_alu 0xfffe
	s_add_nc_u64 s[2:3], s[12:13], s[2:3]
	s_load_b64 s[2:3], s[2:3], 0x0
	s_load_b64 s[0:1], s[0:1], 0x20
	s_delay_alu instid0(VALU_DEP_1) | instskip(NEXT) | instid1(VALU_DEP_1)
	v_mul_u32_u24_e32 v3, 55, v3
	v_sub_nc_u32_e32 v60, v0, v3
	s_delay_alu instid0(VALU_DEP_1)
	v_add_nc_u32_e32 v62, 55, v60
	v_add_nc_u32_e32 v61, 0x6e, v60
	s_wait_kmcnt 0x0
	v_mul_lo_u32 v4, s2, v8
	v_mul_lo_u32 v5, s3, v7
	v_mad_co_u64_u32 v[1:2], null, s2, v7, v[1:2]
	v_cmp_gt_u64_e32 vcc_lo, s[0:1], v[7:8]
	v_cmp_le_u64_e64 s0, s[0:1], v[7:8]
                                        ; implicit-def: $sgpr2
	s_delay_alu instid0(VALU_DEP_3) | instskip(NEXT) | instid1(VALU_DEP_2)
	v_add3_u32 v2, v5, v2, v4
	s_and_saveexec_b32 s1, s0
	s_wait_alu 0xfffe
	s_xor_b32 s0, exec_lo, s1
; %bb.10:
	v_add_nc_u32_e32 v62, 55, v60
	v_add_nc_u32_e32 v61, 0x6e, v60
	s_mov_b32 s2, 0
; %bb.11:
	s_wait_alu 0xfffe
	s_or_saveexec_b32 s1, s0
	v_lshlrev_b64_e32 v[72:73], 4, v[1:2]
	v_mov_b32_e32 v74, s2
                                        ; implicit-def: $vgpr6_vgpr7
                                        ; implicit-def: $vgpr10_vgpr11
                                        ; implicit-def: $vgpr14_vgpr15
                                        ; implicit-def: $vgpr18_vgpr19
                                        ; implicit-def: $vgpr22_vgpr23
                                        ; implicit-def: $vgpr26_vgpr27
                                        ; implicit-def: $vgpr30_vgpr31
                                        ; implicit-def: $vgpr34_vgpr35
                                        ; implicit-def: $vgpr38_vgpr39
                                        ; implicit-def: $vgpr42_vgpr43
                                        ; implicit-def: $vgpr2_vgpr3
	s_wait_alu 0xfffe
	s_xor_b32 exec_lo, exec_lo, s1
	s_cbranch_execz .LBB0_13
; %bb.12:
	v_mad_co_u64_u32 v[0:1], null, s8, v60, 0
	v_mad_co_u64_u32 v[2:3], null, s8, v62, 0
	v_add_nc_u32_e32 v14, 0xa5, v60
	v_add_co_u32 v21, s0, s10, v72
	s_wait_alu 0xf1ff
	v_add_co_ci_u32_e64 v22, s0, s11, v73, s0
	v_add_nc_u32_e32 v20, 0x1b8, v60
	v_mad_co_u64_u32 v[4:5], null, s9, v60, v[1:2]
	v_mov_b32_e32 v1, v3
	v_mad_co_u64_u32 v[5:6], null, s8, v61, 0
	v_mad_co_u64_u32 v[7:8], null, s8, v14, 0
	s_delay_alu instid0(VALU_DEP_3) | instskip(SKIP_1) | instid1(VALU_DEP_4)
	v_mad_co_u64_u32 v[9:10], null, s9, v62, v[1:2]
	v_dual_mov_b32 v1, v4 :: v_dual_add_nc_u32 v16, 0xdc, v60
	v_dual_mov_b32 v4, v6 :: v_dual_add_nc_u32 v17, 0x113, v60
	v_mov_b32_e32 v74, v60
	s_delay_alu instid0(VALU_DEP_3) | instskip(SKIP_1) | instid1(VALU_DEP_4)
	v_lshlrev_b64_e32 v[0:1], 4, v[0:1]
	v_mov_b32_e32 v3, v9
	v_mad_co_u64_u32 v[9:10], null, s9, v61, v[4:5]
	v_mov_b32_e32 v4, v8
	v_mad_co_u64_u32 v[10:11], null, s8, v16, 0
	s_delay_alu instid0(VALU_DEP_4)
	v_lshlrev_b64_e32 v[2:3], 4, v[2:3]
	v_add_co_u32 v0, s0, v21, v0
	v_mov_b32_e32 v6, v9
	v_mad_co_u64_u32 v[8:9], null, s9, v14, v[4:5]
	v_mad_co_u64_u32 v[14:15], null, s8, v17, 0
	s_wait_alu 0xf1ff
	v_add_co_ci_u32_e64 v1, s0, v22, v1, s0
	v_add_co_u32 v12, s0, v21, v2
	v_lshlrev_b64_e32 v[5:6], 4, v[5:6]
	v_mov_b32_e32 v4, v11
	s_wait_alu 0xf1ff
	v_add_co_ci_u32_e64 v13, s0, v22, v3, s0
	s_clause 0x1
	global_load_b128 v[0:3], v[0:1], off
	global_load_b128 v[40:43], v[12:13], off
	v_mad_co_u64_u32 v[11:12], null, s9, v16, v[4:5]
	v_dual_mov_b32 v4, v15 :: v_dual_add_nc_u32 v23, 0x1ef, v60
	v_add_co_u32 v5, s0, v21, v5
	v_lshlrev_b64_e32 v[7:8], 4, v[7:8]
	s_wait_alu 0xf1ff
	v_add_co_ci_u32_e64 v6, s0, v22, v6, s0
	s_delay_alu instid0(VALU_DEP_3) | instskip(SKIP_1) | instid1(VALU_DEP_4)
	v_mad_co_u64_u32 v[12:13], null, s9, v17, v[4:5]
	v_add_nc_u32_e32 v13, 0x14a, v60
	v_add_co_u32 v7, s0, v21, v7
	s_wait_alu 0xf1ff
	v_add_co_ci_u32_e64 v8, s0, v22, v8, s0
	s_delay_alu instid0(VALU_DEP_3)
	v_mad_co_u64_u32 v[16:17], null, s8, v13, 0
	v_mov_b32_e32 v15, v12
	v_lshlrev_b64_e32 v[9:10], 4, v[10:11]
	s_clause 0x1
	global_load_b128 v[36:39], v[5:6], off
	global_load_b128 v[32:35], v[7:8], off
	v_lshlrev_b64_e32 v[7:8], 4, v[14:15]
	v_mov_b32_e32 v6, v17
	v_add_co_u32 v4, s0, v21, v9
	s_wait_alu 0xf1ff
	v_add_co_ci_u32_e64 v5, s0, v22, v10, s0
	s_delay_alu instid0(VALU_DEP_3)
	v_mad_co_u64_u32 v[9:10], null, s9, v13, v[6:7]
	v_mad_co_u64_u32 v[12:13], null, s8, v20, 0
	v_add_nc_u32_e32 v18, 0x181, v60
	v_add_co_u32 v6, s0, v21, v7
	s_wait_alu 0xf1ff
	v_add_co_ci_u32_e64 v7, s0, v22, v8, s0
	v_mov_b32_e32 v17, v9
	v_mov_b32_e32 v9, v13
	v_mad_co_u64_u32 v[10:11], null, s8, v18, 0
	v_mad_co_u64_u32 v[14:15], null, s8, v23, 0
	s_clause 0x1
	global_load_b128 v[28:31], v[4:5], off
	global_load_b128 v[24:27], v[6:7], off
	v_lshlrev_b64_e32 v[5:6], 4, v[16:17]
	v_mov_b32_e32 v8, v11
	v_mov_b32_e32 v4, v15
	s_delay_alu instid0(VALU_DEP_2) | instskip(NEXT) | instid1(VALU_DEP_1)
	v_mad_co_u64_u32 v[18:19], null, s9, v18, v[8:9]
	v_mov_b32_e32 v11, v18
	v_mad_co_u64_u32 v[8:9], null, s9, v20, v[9:10]
	s_delay_alu instid0(VALU_DEP_1) | instskip(NEXT) | instid1(VALU_DEP_1)
	v_dual_mov_b32 v13, v8 :: v_dual_add_nc_u32 v44, 0x226, v60
	v_mad_co_u64_u32 v[19:20], null, s8, v44, 0
	v_mad_co_u64_u32 v[7:8], null, s9, v23, v[4:5]
	v_add_co_u32 v5, s0, v21, v5
	v_lshlrev_b64_e32 v[8:9], 4, v[10:11]
	s_wait_alu 0xf1ff
	v_add_co_ci_u32_e64 v6, s0, v22, v6, s0
	s_delay_alu instid0(VALU_DEP_4) | instskip(NEXT) | instid1(VALU_DEP_3)
	v_dual_mov_b32 v4, v20 :: v_dual_mov_b32 v15, v7
	v_add_co_u32 v7, s0, v21, v8
	s_delay_alu instid0(VALU_DEP_2) | instskip(SKIP_4) | instid1(VALU_DEP_4)
	v_mad_co_u64_u32 v[10:11], null, s9, v44, v[4:5]
	v_lshlrev_b64_e32 v[11:12], 4, v[12:13]
	s_wait_alu 0xf1ff
	v_add_co_ci_u32_e64 v8, s0, v22, v9, s0
	v_lshlrev_b64_e32 v[13:14], 4, v[14:15]
	v_mov_b32_e32 v20, v10
	s_delay_alu instid0(VALU_DEP_4) | instskip(SKIP_2) | instid1(VALU_DEP_3)
	v_add_co_u32 v9, s0, v21, v11
	s_wait_alu 0xf1ff
	v_add_co_ci_u32_e64 v10, s0, v22, v12, s0
	v_lshlrev_b64_e32 v[11:12], 4, v[19:20]
	v_add_co_u32 v44, s0, v21, v13
	s_wait_alu 0xf1ff
	v_add_co_ci_u32_e64 v45, s0, v22, v14, s0
	s_delay_alu instid0(VALU_DEP_3)
	v_add_co_u32 v46, s0, v21, v11
	s_wait_alu 0xf1ff
	v_add_co_ci_u32_e64 v47, s0, v22, v12, s0
	s_clause 0x4
	global_load_b128 v[20:23], v[5:6], off
	global_load_b128 v[16:19], v[7:8], off
	;; [unrolled: 1-line block ×5, first 2 shown]
.LBB0_13:
	s_or_b32 exec_lo, exec_lo, s1
	s_wait_loadcnt 0x9
	v_add_f64_e32 v[46:47], v[40:41], v[0:1]
	v_add_f64_e32 v[48:49], v[42:43], v[2:3]
	s_wait_loadcnt 0x0
	v_add_f64_e64 v[50:51], v[42:43], -v[6:7]
	v_add_f64_e64 v[52:53], v[40:41], -v[4:5]
	v_add_f64_e32 v[56:57], v[12:13], v[32:33]
	v_add_f64_e32 v[58:59], v[14:15], v[34:35]
	v_add_f64_e64 v[63:64], v[32:33], -v[12:13]
	v_add_f64_e64 v[65:66], v[34:35], -v[14:15]
	s_mov_b32 s24, 0xf8bb580b
	v_add_f64_e32 v[44:45], v[4:5], v[40:41]
	v_add_f64_e32 v[40:41], v[6:7], v[42:43]
	s_mov_b32 s25, 0xbfe14ced
	s_mov_b32 s13, 0xbfed1bb4
	;; [unrolled: 1-line block ×4, first 2 shown]
	v_add_f64_e64 v[42:43], v[38:39], -v[10:11]
	v_add_f64_e64 v[54:55], v[36:37], -v[8:9]
	s_mov_b32 s15, 0xbfefac9e
	s_mov_b32 s16, 0xbb3a28a1
	;; [unrolled: 1-line block ×5, first 2 shown]
	v_add_f64_e64 v[83:84], v[24:25], -v[20:21]
	v_add_f64_e32 v[67:68], v[16:17], v[28:29]
	v_add_f64_e32 v[69:70], v[18:19], v[30:31]
	v_add_f64_e64 v[75:76], v[28:29], -v[16:17]
	v_add_f64_e64 v[77:78], v[30:31], -v[18:19]
	s_mov_b32 s0, 0x8764f0ba
	s_mov_b32 s2, 0xd9c712b6
	;; [unrolled: 1-line block ×10, first 2 shown]
	s_wait_alu 0xfffe
	s_mov_b32 s26, s24
	v_add_f64_e32 v[46:47], v[36:37], v[46:47]
	v_add_f64_e32 v[48:49], v[38:39], v[48:49]
	v_mul_f64_e32 v[87:88], s[24:25], v[50:51]
	v_mul_f64_e32 v[89:90], s[24:25], v[52:53]
	;; [unrolled: 1-line block ×10, first 2 shown]
	s_mov_b32 s7, 0xbfc2375f
	s_mov_b32 s22, 0x7f775887
	;; [unrolled: 1-line block ×3, first 2 shown]
	v_mul_f64_e32 v[103:104], s[12:13], v[42:43]
	s_mov_b32 s23, 0xbfe4f49e
	s_mov_b32 s21, 0xbfeeb42a
	v_add_f64_e32 v[36:37], v[8:9], v[36:37]
	v_add_f64_e32 v[38:39], v[10:11], v[38:39]
	v_mul_f64_e32 v[105:106], s[16:17], v[42:43]
	v_mul_f64_e32 v[107:108], s[30:31], v[42:43]
	;; [unrolled: 1-line block ×3, first 2 shown]
	s_wait_alu 0xfffe
	v_mul_f64_e32 v[42:43], s[26:27], v[42:43]
	v_mul_f64_e32 v[155:156], s[26:27], v[83:84]
	;; [unrolled: 1-line block ×7, first 2 shown]
	v_add_f64_e32 v[79:80], v[20:21], v[24:25]
	v_add_f64_e32 v[81:82], v[22:23], v[26:27]
	v_add_f64_e64 v[85:86], v[26:27], -v[22:23]
	v_mul_f64_e32 v[115:116], s[14:15], v[65:66]
	v_mul_f64_e32 v[117:118], s[30:31], v[65:66]
	;; [unrolled: 1-line block ×5, first 2 shown]
	v_add_f64_e32 v[32:33], v[32:33], v[46:47]
	v_add_f64_e32 v[34:35], v[34:35], v[48:49]
	v_mul_f64_e32 v[46:47], s[12:13], v[54:55]
	s_mov_b32 s13, 0x3fed1bb4
	v_mul_f64_e32 v[48:49], s[16:17], v[54:55]
	v_fma_f64 v[163:164], v[44:45], s[2:3], v[91:92]
	v_fma_f64 v[165:166], v[40:41], s[2:3], -v[93:94]
	v_fma_f64 v[91:92], v[44:45], s[2:3], -v[91:92]
	v_fma_f64 v[167:168], v[44:45], s[6:7], v[95:96]
	v_fma_f64 v[169:170], v[40:41], s[6:7], -v[97:98]
	v_fma_f64 v[95:96], v[44:45], s[6:7], -v[95:96]
	v_fma_f64 v[171:172], v[44:45], s[22:23], v[99:100]
	v_fma_f64 v[99:100], v[44:45], s[22:23], -v[99:100]
	v_fma_f64 v[173:174], v[44:45], s[20:21], v[50:51]
	v_mul_f64_e32 v[54:55], s[26:27], v[54:55]
	v_fma_f64 v[175:176], v[40:41], s[20:21], -v[52:53]
	v_fma_f64 v[93:94], v[40:41], s[2:3], v[93:94]
	v_fma_f64 v[97:98], v[40:41], s[6:7], v[97:98]
	v_mul_f64_e32 v[125:126], s[30:31], v[63:64]
	v_mul_f64_e32 v[127:128], s[24:25], v[63:64]
	;; [unrolled: 1-line block ×3, first 2 shown]
	s_wait_alu 0xfffe
	v_mul_f64_e32 v[65:66], s[12:13], v[65:66]
	v_mul_f64_e32 v[63:64], s[12:13], v[63:64]
	v_fma_f64 v[177:178], v[36:37], s[22:23], v[105:106]
	v_fma_f64 v[105:106], v[36:37], s[22:23], -v[105:106]
	v_fma_f64 v[179:180], v[36:37], s[20:21], v[107:108]
	v_fma_f64 v[107:108], v[36:37], s[20:21], -v[107:108]
	;; [unrolled: 2-line block ×4, first 2 shown]
	v_mul_f64_e32 v[131:132], s[16:17], v[77:78]
	v_mul_f64_e32 v[133:134], s[28:29], v[77:78]
	;; [unrolled: 1-line block ×4, first 2 shown]
	v_fma_f64 v[189:190], v[56:57], s[20:21], v[117:118]
	v_fma_f64 v[117:118], v[56:57], s[20:21], -v[117:118]
	v_fma_f64 v[191:192], v[56:57], s[0:1], v[119:120]
	v_add_f64_e32 v[28:29], v[28:29], v[32:33]
	v_add_f64_e32 v[30:31], v[30:31], v[34:35]
	v_mul_f64_e32 v[32:33], s[12:13], v[83:84]
	v_fma_f64 v[34:35], v[44:45], s[0:1], v[87:88]
	v_fma_f64 v[83:84], v[40:41], s[0:1], -v[89:90]
	v_fma_f64 v[87:88], v[44:45], s[0:1], -v[87:88]
	v_fma_f64 v[89:90], v[40:41], s[0:1], v[89:90]
	v_fma_f64 v[44:45], v[44:45], s[20:21], -v[50:51]
	v_fma_f64 v[50:51], v[40:41], s[22:23], -v[101:102]
	v_fma_f64 v[101:102], v[40:41], s[22:23], v[101:102]
	v_fma_f64 v[40:41], v[40:41], s[20:21], v[52:53]
	;; [unrolled: 1-line block ×3, first 2 shown]
	v_fma_f64 v[103:104], v[36:37], s[2:3], -v[103:104]
	v_fma_f64 v[36:37], v[36:37], s[0:1], -v[42:43]
	;; [unrolled: 1-line block ×3, first 2 shown]
	v_fma_f64 v[46:47], v[38:39], s[2:3], v[46:47]
	v_fma_f64 v[185:186], v[38:39], s[22:23], -v[48:49]
	v_add_f64_e32 v[163:164], v[0:1], v[163:164]
	v_add_f64_e32 v[165:166], v[2:3], v[165:166]
	;; [unrolled: 1-line block ×10, first 2 shown]
	v_fma_f64 v[48:49], v[38:39], s[22:23], v[48:49]
	v_add_f64_e32 v[97:98], v[2:3], v[97:98]
	v_add_f64_e32 v[93:94], v[2:3], v[93:94]
	v_fma_f64 v[119:120], v[56:57], s[0:1], -v[119:120]
	v_fma_f64 v[193:194], v[56:57], s[22:23], v[121:122]
	v_fma_f64 v[121:122], v[56:57], s[22:23], -v[121:122]
	v_fma_f64 v[195:196], v[58:59], s[6:7], -v[123:124]
	v_fma_f64 v[123:124], v[58:59], s[6:7], v[123:124]
	v_fma_f64 v[197:198], v[58:59], s[20:21], -v[125:126]
	v_fma_f64 v[125:126], v[58:59], s[20:21], v[125:126]
	v_fma_f64 v[203:204], v[56:57], s[2:3], v[65:66]
	v_add_f64_e32 v[24:25], v[24:25], v[28:29]
	v_add_f64_e32 v[26:27], v[26:27], v[30:31]
	v_fma_f64 v[30:31], v[38:39], s[6:7], -v[113:114]
	v_add_f64_e32 v[34:35], v[0:1], v[34:35]
	v_fma_f64 v[28:29], v[38:39], s[20:21], v[111:112]
	v_add_f64_e32 v[87:88], v[0:1], v[87:88]
	v_add_f64_e32 v[89:90], v[2:3], v[89:90]
	v_fma_f64 v[111:112], v[38:39], s[6:7], v[113:114]
	v_add_f64_e32 v[50:51], v[2:3], v[50:51]
	v_fma_f64 v[113:114], v[38:39], s[0:1], -v[54:55]
	v_fma_f64 v[38:39], v[38:39], s[0:1], v[54:55]
	v_add_f64_e32 v[0:1], v[0:1], v[44:45]
	v_add_f64_e32 v[40:41], v[2:3], v[40:41]
	;; [unrolled: 1-line block ×4, first 2 shown]
	v_fma_f64 v[54:55], v[56:57], s[6:7], v[115:116]
	v_fma_f64 v[115:116], v[56:57], s[6:7], -v[115:116]
	v_fma_f64 v[83:84], v[58:59], s[22:23], -v[129:130]
	v_fma_f64 v[101:102], v[58:59], s[22:23], v[129:130]
	v_fma_f64 v[56:57], v[56:57], s[2:3], -v[65:66]
	v_fma_f64 v[65:66], v[58:59], s[2:3], -v[63:64]
	v_mul_f64_e32 v[135:136], s[24:25], v[77:78]
	v_mul_f64_e32 v[143:144], s[24:25], v[75:76]
	;; [unrolled: 1-line block ×6, first 2 shown]
	v_add_f64_e32 v[95:96], v[107:108], v[95:96]
	v_mul_f64_e32 v[149:150], s[26:27], v[85:86]
	v_fma_f64 v[129:130], v[67:68], s[22:23], -v[131:132]
	v_mul_f64_e32 v[151:152], s[16:17], v[85:86]
	v_mul_f64_e32 v[147:148], s[18:19], v[85:86]
	;; [unrolled: 1-line block ×4, first 2 shown]
	v_add_f64_e32 v[20:21], v[20:21], v[24:25]
	v_add_f64_e32 v[22:23], v[22:23], v[26:27]
	v_fma_f64 v[24:25], v[58:59], s[0:1], -v[127:128]
	v_fma_f64 v[26:27], v[58:59], s[0:1], v[127:128]
	v_fma_f64 v[58:59], v[58:59], s[2:3], v[63:64]
	v_add_f64_e32 v[34:35], v[52:53], v[34:35]
	v_add_f64_e32 v[52:53], v[103:104], v[87:88]
	;; [unrolled: 1-line block ×19, first 2 shown]
	v_fma_f64 v[127:128], v[67:68], s[22:23], v[131:132]
	v_fma_f64 v[131:132], v[67:68], s[6:7], v[133:134]
	v_fma_f64 v[42:43], v[69:70], s[6:7], -v[141:142]
	v_fma_f64 v[199:200], v[67:68], s[0:1], v[135:136]
	v_fma_f64 v[48:49], v[69:70], s[0:1], -v[143:144]
	v_fma_f64 v[133:134], v[67:68], s[6:7], -v[133:134]
	;; [unrolled: 1-line block ×3, first 2 shown]
	v_fma_f64 v[201:202], v[67:68], s[20:21], v[137:138]
	v_fma_f64 v[137:138], v[67:68], s[20:21], -v[137:138]
	v_fma_f64 v[44:45], v[69:70], s[6:7], v[141:142]
	v_fma_f64 v[93:94], v[69:70], s[0:1], v[143:144]
	v_fma_f64 v[97:98], v[69:70], s[20:21], -v[145:146]
	v_fma_f64 v[109:110], v[69:70], s[20:21], v[145:146]
	v_fma_f64 v[143:144], v[67:68], s[2:3], v[77:78]
	v_add_f64_e32 v[16:17], v[16:17], v[20:21]
	v_add_f64_e32 v[18:19], v[18:19], v[22:23]
	v_fma_f64 v[22:23], v[69:70], s[22:23], v[139:140]
	v_fma_f64 v[20:21], v[69:70], s[22:23], -v[139:140]
	v_fma_f64 v[67:68], v[67:68], s[2:3], -v[77:78]
	v_add_f64_e32 v[34:35], v[54:55], v[34:35]
	v_fma_f64 v[77:78], v[69:70], s[2:3], -v[75:76]
	v_add_f64_e32 v[46:47], v[123:124], v[46:47]
	v_add_f64_e32 v[54:55], v[189:190], v[63:64]
	;; [unrolled: 1-line block ×3, first 2 shown]
	v_fma_f64 v[69:70], v[69:70], s[2:3], v[75:76]
	v_add_f64_e32 v[87:88], v[203:204], v[91:92]
	v_add_f64_e32 v[65:66], v[65:66], v[103:104]
	v_add_f64_e32 v[75:76], v[117:118], v[89:90]
	v_add_f64_e32 v[89:90], v[191:192], v[105:106]
	v_add_f64_e32 v[24:25], v[24:25], v[30:31]
	v_add_f64_e32 v[30:31], v[119:120], v[50:51]
	v_add_f64_e32 v[50:51], v[193:194], v[99:100]
	v_add_f64_e32 v[83:84], v[83:84], v[107:108]
	v_add_f64_e32 v[56:57], v[56:57], v[95:96]
	v_add_f64_e32 v[0:1], v[121:122], v[0:1]
	v_add_f64_e32 v[36:37], v[101:102], v[36:37]
	v_add_f64_e32 v[52:53], v[115:116], v[52:53]
	v_add_f64_e32 v[26:27], v[26:27], v[38:39]
	v_add_f64_e32 v[28:29], v[58:59], v[28:29]
	v_add_f64_e32 v[38:39], v[125:126], v[40:41]
	v_add_f64_e32 v[2:3], v[195:196], v[2:3]
	v_fma_f64 v[139:140], v[79:80], s[0:1], v[149:150]
	v_fma_f64 v[99:100], v[81:82], s[22:23], -v[157:158]
	v_fma_f64 v[107:108], v[81:82], s[20:21], v[161:162]
	v_fma_f64 v[111:112], v[79:80], s[20:21], v[147:148]
	v_fma_f64 v[113:114], v[79:80], s[20:21], -v[147:148]
	v_fma_f64 v[141:142], v[79:80], s[0:1], -v[149:150]
	;; [unrolled: 1-line block ×3, first 2 shown]
	v_fma_f64 v[58:59], v[79:80], s[6:7], v[153:154]
	v_fma_f64 v[91:92], v[79:80], s[6:7], -v[153:154]
	v_fma_f64 v[117:118], v[79:80], s[2:3], v[85:86]
	v_fma_f64 v[103:104], v[81:82], s[6:7], -v[159:160]
	v_add_f64_e32 v[12:13], v[12:13], v[16:17]
	v_add_f64_e32 v[14:15], v[14:15], v[18:19]
	v_fma_f64 v[16:17], v[81:82], s[0:1], -v[155:156]
	v_fma_f64 v[18:19], v[79:80], s[22:23], v[151:152]
	v_fma_f64 v[79:80], v[79:80], s[2:3], -v[85:86]
	v_fma_f64 v[85:86], v[81:82], s[2:3], -v[32:33]
	v_fma_f64 v[105:106], v[81:82], s[6:7], v[159:160]
	v_add_f64_e32 v[22:23], v[22:23], v[46:47]
	v_add_f64_e32 v[46:47], v[131:132], v[54:55]
	;; [unrolled: 1-line block ×3, first 2 shown]
	v_fma_f64 v[95:96], v[81:82], s[0:1], v[155:156]
	v_add_f64_e32 v[54:55], v[199:200], v[87:88]
	v_add_f64_e32 v[48:49], v[48:49], v[65:66]
	v_fma_f64 v[101:102], v[81:82], s[22:23], v[157:158]
	v_add_f64_e32 v[63:64], v[201:202], v[89:90]
	v_add_f64_e32 v[65:66], v[97:98], v[24:25]
	v_fma_f64 v[115:116], v[81:82], s[20:21], -v[161:162]
	v_add_f64_e32 v[50:51], v[143:144], v[50:51]
	v_add_f64_e32 v[77:78], v[77:78], v[83:84]
	;; [unrolled: 1-line block ×5, first 2 shown]
	v_fma_f64 v[81:82], v[81:82], s[2:3], v[32:33]
	v_add_f64_e32 v[32:33], v[127:128], v[34:35]
	v_add_f64_e32 v[34:35], v[129:130], v[52:53]
	;; [unrolled: 1-line block ×8, first 2 shown]
	v_cmp_gt_u32_e64 s0, 11, v60
	v_add_f64_e32 v[87:88], v[8:9], v[12:13]
	v_add_f64_e32 v[10:11], v[10:11], v[14:15]
	;; [unrolled: 1-line block ×9, first 2 shown]
	v_mad_u32_u24 v64, 0xb0, v60, 0
	v_add_f64_e32 v[36:37], v[58:59], v[50:51]
	v_add_f64_e32 v[38:39], v[103:104], v[77:78]
	;; [unrolled: 1-line block ×5, first 2 shown]
	v_mad_i32_i24 v65, 0xffffff60, v60, v64
	v_add_f64_e32 v[8:9], v[111:112], v[32:33]
	v_add_f64_e32 v[0:1], v[113:114], v[34:35]
	;; [unrolled: 1-line block ×7, first 2 shown]
	v_lshl_add_u32 v63, v62, 4, 0
	v_lshl_add_u32 v76, v61, 4, 0
	v_add_f64_e32 v[4:5], v[4:5], v[87:88]
	v_add_f64_e32 v[6:7], v[6:7], v[10:11]
	;; [unrolled: 1-line block ×3, first 2 shown]
	ds_store_b128 v64, v[12:15] offset:32
	ds_store_b128 v64, v[20:23] offset:48
	;; [unrolled: 1-line block ×9, first 2 shown]
	ds_store_b128 v64, v[4:7]
	ds_store_b128 v64, v[8:11] offset:16
	global_wb scope:SCOPE_SE
	s_wait_dscnt 0x0
	s_barrier_signal -1
	s_barrier_wait -1
	global_inv scope:SCOPE_SE
	ds_load_b128 v[24:27], v65
	ds_load_b128 v[20:23], v63
	ds_load_b128 v[44:47], v65 offset:1936
	ds_load_b128 v[28:31], v65 offset:2816
	;; [unrolled: 1-line block ×8, first 2 shown]
	v_mul_i32_i24_e32 v4, 0xffffff60, v60
                                        ; implicit-def: $vgpr18_vgpr19
                                        ; implicit-def: $vgpr14_vgpr15
                                        ; implicit-def: $vgpr10_vgpr11
                                        ; implicit-def: $vgpr6_vgpr7
	s_delay_alu instid0(VALU_DEP_1)
	v_add_nc_u32_e32 v75, v64, v4
	s_and_saveexec_b32 s1, s0
	s_cbranch_execz .LBB0_15
; %bb.14:
	ds_load_b128 v[0:3], v76
	ds_load_b128 v[4:7], v75 offset:3696
	ds_load_b128 v[8:11], v75 offset:5632
	;; [unrolled: 1-line block ×4, first 2 shown]
.LBB0_15:
	s_wait_alu 0xfffe
	s_or_b32 exec_lo, exec_lo, s1
	v_and_b32_e32 v64, 0xff, v60
	v_and_b32_e32 v65, 0xff, v62
	s_mov_b32 s2, 0x134454ff
	s_mov_b32 s3, 0xbfee6f0e
	;; [unrolled: 1-line block ×3, first 2 shown]
	v_mul_lo_u16 v64, 0x75, v64
	v_mul_lo_u16 v65, 0x75, v65
	s_wait_alu 0xfffe
	s_mov_b32 s6, s2
	s_mov_b32 s14, 0x4755a5e
	;; [unrolled: 1-line block ×3, first 2 shown]
	v_lshrrev_b16 v64, 8, v64
	v_lshrrev_b16 v65, 8, v65
	s_mov_b32 s13, 0x3fe2cf23
	s_wait_alu 0xfffe
	s_mov_b32 s12, s14
	s_mov_b32 s16, 0x372fe950
	v_sub_nc_u16 v66, v60, v64
	v_sub_nc_u16 v67, v62, v65
	s_mov_b32 s17, 0x3fd3c6ef
	s_delay_alu instid0(VALU_DEP_2) | instskip(NEXT) | instid1(VALU_DEP_2)
	v_lshrrev_b16 v66, 1, v66
	v_lshrrev_b16 v67, 1, v67
	s_delay_alu instid0(VALU_DEP_2) | instskip(NEXT) | instid1(VALU_DEP_1)
	v_and_b32_e32 v66, 0x7f, v66
	v_add_nc_u16 v64, v66, v64
	s_delay_alu instid0(VALU_DEP_3) | instskip(NEXT) | instid1(VALU_DEP_2)
	v_and_b32_e32 v66, 0x7f, v67
	v_lshrrev_b16 v133, 3, v64
	s_delay_alu instid0(VALU_DEP_2) | instskip(NEXT) | instid1(VALU_DEP_2)
	v_add_nc_u16 v64, v66, v65
	v_mul_lo_u16 v65, v133, 11
	s_delay_alu instid0(VALU_DEP_2) | instskip(NEXT) | instid1(VALU_DEP_2)
	v_lshrrev_b16 v134, 3, v64
	v_sub_nc_u16 v64, v60, v65
	s_delay_alu instid0(VALU_DEP_2) | instskip(NEXT) | instid1(VALU_DEP_2)
	v_mul_lo_u16 v65, v134, 11
	v_and_b32_e32 v135, 0xff, v64
	s_delay_alu instid0(VALU_DEP_2) | instskip(NEXT) | instid1(VALU_DEP_2)
	v_sub_nc_u16 v62, v62, v65
	v_lshlrev_b32_e32 v81, 6, v135
	s_delay_alu instid0(VALU_DEP_2)
	v_and_b32_e32 v62, 0xff, v62
	s_clause 0x2
	global_load_b128 v[64:67], v81, s[4:5]
	global_load_b128 v[68:71], v81, s[4:5] offset:16
	global_load_b128 v[77:80], v81, s[4:5] offset:32
	v_lshlrev_b32_e32 v97, 6, v62
	v_lshlrev_b32_e32 v62, 4, v62
	s_clause 0x4
	global_load_b128 v[81:84], v81, s[4:5] offset:48
	global_load_b128 v[85:88], v97, s[4:5]
	global_load_b128 v[89:92], v97, s[4:5] offset:16
	global_load_b128 v[93:96], v97, s[4:5] offset:32
	;; [unrolled: 1-line block ×3, first 2 shown]
	global_wb scope:SCOPE_SE
	s_wait_loadcnt_dscnt 0x0
	s_barrier_signal -1
	s_barrier_wait -1
	global_inv scope:SCOPE_SE
	v_mul_f64_e32 v[101:102], v[46:47], v[66:67]
	v_mul_f64_e32 v[103:104], v[50:51], v[70:71]
	;; [unrolled: 1-line block ×16, first 2 shown]
	v_fma_f64 v[44:45], v[44:45], v[64:65], v[101:102]
	v_fma_f64 v[48:49], v[48:49], v[68:69], v[103:104]
	;; [unrolled: 1-line block ×3, first 2 shown]
	v_fma_f64 v[50:51], v[50:51], v[68:69], -v[70:71]
	v_fma_f64 v[54:55], v[54:55], v[77:78], -v[79:80]
	;; [unrolled: 1-line block ×3, first 2 shown]
	v_fma_f64 v[56:57], v[56:57], v[81:82], v[107:108]
	v_fma_f64 v[58:59], v[58:59], v[81:82], -v[83:84]
	v_fma_f64 v[32:33], v[32:33], v[89:90], v[111:112]
	v_fma_f64 v[36:37], v[36:37], v[93:94], v[113:114]
	v_fma_f64 v[34:35], v[34:35], v[89:90], -v[91:92]
	v_fma_f64 v[38:39], v[38:39], v[93:94], -v[95:96]
	v_fma_f64 v[28:29], v[28:29], v[85:86], v[109:110]
	v_fma_f64 v[30:31], v[30:31], v[85:86], -v[87:88]
	v_fma_f64 v[40:41], v[40:41], v[97:98], v[115:116]
	v_fma_f64 v[42:43], v[42:43], v[97:98], -v[99:100]
	v_add_f64_e32 v[85:86], v[24:25], v[44:45]
	v_add_f64_e32 v[64:65], v[48:49], v[52:53]
	;; [unrolled: 1-line block ×6, first 2 shown]
	v_add_f64_e64 v[87:88], v[46:47], -v[58:59]
	v_add_f64_e32 v[77:78], v[32:33], v[36:37]
	v_add_f64_e64 v[97:98], v[44:45], -v[56:57]
	v_add_f64_e32 v[81:82], v[34:35], v[38:39]
	v_add_f64_e32 v[93:94], v[20:21], v[28:29]
	v_add_f64_e64 v[89:90], v[50:51], -v[54:55]
	v_add_f64_e32 v[79:80], v[28:29], v[40:41]
	v_add_f64_e32 v[83:84], v[30:31], v[42:43]
	;; [unrolled: 1-line block ×3, first 2 shown]
	v_add_f64_e64 v[99:100], v[30:31], -v[42:43]
	v_add_f64_e64 v[101:102], v[28:29], -v[40:41]
	;; [unrolled: 1-line block ×16, first 2 shown]
	v_fma_f64 v[64:65], v[64:65], -0.5, v[24:25]
	v_fma_f64 v[68:69], v[68:69], -0.5, v[26:27]
	v_add_f64_e32 v[50:51], v[91:92], v[50:51]
	v_fma_f64 v[24:25], v[66:67], -0.5, v[24:25]
	v_add_f64_e64 v[66:67], v[48:49], -v[52:53]
	v_fma_f64 v[26:27], v[70:71], -0.5, v[26:27]
	v_fma_f64 v[77:78], v[77:78], -0.5, v[20:21]
	v_add_f64_e64 v[70:71], v[34:35], -v[38:39]
	v_fma_f64 v[81:82], v[81:82], -0.5, v[22:23]
	v_fma_f64 v[20:21], v[79:80], -0.5, v[20:21]
	v_add_f64_e64 v[79:80], v[32:33], -v[36:37]
	v_fma_f64 v[22:23], v[83:84], -0.5, v[22:23]
	v_add_f64_e64 v[83:84], v[44:45], -v[48:49]
	v_add_f64_e64 v[44:45], v[48:49], -v[44:45]
	v_add_f64_e32 v[48:49], v[85:86], v[48:49]
	v_add_f64_e32 v[32:33], v[93:94], v[32:33]
	;; [unrolled: 1-line block ×5, first 2 shown]
	v_fma_f64 v[85:86], v[87:88], s[2:3], v[64:65]
	v_fma_f64 v[64:65], v[87:88], s[6:7], v[64:65]
	;; [unrolled: 1-line block ×16, first 2 shown]
	v_add_f64_e32 v[83:84], v[83:84], v[103:104]
	v_add_f64_e32 v[103:104], v[107:108], v[109:110]
	;; [unrolled: 1-line block ×10, first 2 shown]
	v_fma_f64 v[36:37], v[89:90], s[14:15], v[85:86]
	s_wait_alu 0xfffe
	v_fma_f64 v[38:39], v[89:90], s[12:13], v[64:65]
	v_fma_f64 v[52:53], v[66:67], s[12:13], v[93:94]
	;; [unrolled: 1-line block ×15, first 2 shown]
	v_add_f64_e32 v[20:21], v[28:29], v[56:57]
	v_add_f64_e32 v[22:23], v[30:31], v[58:59]
	;; [unrolled: 1-line block ×4, first 2 shown]
	v_fma_f64 v[28:29], v[83:84], s[16:17], v[36:37]
	v_fma_f64 v[32:33], v[83:84], s[16:17], v[38:39]
	;; [unrolled: 1-line block ×16, first 2 shown]
	v_and_b32_e32 v64, 0xffff, v133
	v_and_b32_e32 v65, 0xffff, v134
	v_lshlrev_b32_e32 v66, 4, v135
	s_delay_alu instid0(VALU_DEP_3) | instskip(NEXT) | instid1(VALU_DEP_3)
	v_mul_u32_u24_e32 v64, 0x370, v64
	v_mul_u32_u24_e32 v65, 0x370, v65
	s_delay_alu instid0(VALU_DEP_2) | instskip(NEXT) | instid1(VALU_DEP_2)
	v_add3_u32 v64, 0, v64, v66
	v_add3_u32 v62, 0, v65, v62
	ds_store_b128 v64, v[20:23]
	ds_store_b128 v64, v[28:31] offset:176
	ds_store_b128 v64, v[36:39] offset:352
	;; [unrolled: 1-line block ×4, first 2 shown]
	ds_store_b128 v62, v[24:27]
	ds_store_b128 v62, v[44:47] offset:176
	ds_store_b128 v62, v[52:55] offset:352
	;; [unrolled: 1-line block ×4, first 2 shown]
	s_and_saveexec_b32 s1, s0
	s_cbranch_execz .LBB0_17
; %bb.16:
	v_and_b32_e32 v20, 0xff, v61
	s_delay_alu instid0(VALU_DEP_1) | instskip(NEXT) | instid1(VALU_DEP_1)
	v_mul_lo_u16 v20, 0x75, v20
	v_lshrrev_b16 v20, 8, v20
	s_delay_alu instid0(VALU_DEP_1) | instskip(NEXT) | instid1(VALU_DEP_1)
	v_sub_nc_u16 v21, v61, v20
	v_lshrrev_b16 v21, 1, v21
	s_delay_alu instid0(VALU_DEP_1) | instskip(NEXT) | instid1(VALU_DEP_1)
	v_and_b32_e32 v21, 0x7f, v21
	v_add_nc_u16 v20, v21, v20
	s_delay_alu instid0(VALU_DEP_1) | instskip(NEXT) | instid1(VALU_DEP_1)
	v_lshrrev_b16 v20, 3, v20
	v_mul_lo_u16 v20, v20, 11
	s_delay_alu instid0(VALU_DEP_1) | instskip(NEXT) | instid1(VALU_DEP_1)
	v_sub_nc_u16 v20, v61, v20
	v_and_b32_e32 v52, 0xff, v20
	s_delay_alu instid0(VALU_DEP_1)
	v_lshlrev_b32_e32 v32, 6, v52
	s_clause 0x3
	global_load_b128 v[20:23], v32, s[4:5] offset:16
	global_load_b128 v[24:27], v32, s[4:5]
	global_load_b128 v[28:31], v32, s[4:5] offset:48
	global_load_b128 v[32:35], v32, s[4:5] offset:32
	s_wait_loadcnt 0x3
	v_mul_f64_e32 v[36:37], v[8:9], v[22:23]
	s_wait_loadcnt 0x2
	v_mul_f64_e32 v[38:39], v[4:5], v[26:27]
	;; [unrolled: 2-line block ×4, first 2 shown]
	v_mul_f64_e32 v[22:23], v[10:11], v[22:23]
	v_mul_f64_e32 v[34:35], v[14:15], v[34:35]
	;; [unrolled: 1-line block ×4, first 2 shown]
	v_fma_f64 v[10:11], v[10:11], v[20:21], -v[36:37]
	v_fma_f64 v[6:7], v[6:7], v[24:25], -v[38:39]
	;; [unrolled: 1-line block ×4, first 2 shown]
	v_fma_f64 v[8:9], v[8:9], v[20:21], v[22:23]
	v_fma_f64 v[12:13], v[12:13], v[32:33], v[34:35]
	;; [unrolled: 1-line block ×4, first 2 shown]
	v_add_f64_e32 v[32:33], v[2:3], v[6:7]
	v_add_f64_e32 v[20:21], v[6:7], v[18:19]
	;; [unrolled: 1-line block ×3, first 2 shown]
	v_add_f64_e64 v[36:37], v[6:7], -v[18:19]
	v_add_f64_e32 v[24:25], v[8:9], v[12:13]
	v_add_f64_e32 v[34:35], v[0:1], v[4:5]
	;; [unrolled: 1-line block ×3, first 2 shown]
	v_add_f64_e64 v[28:29], v[8:9], -v[12:13]
	v_add_f64_e64 v[30:31], v[4:5], -v[16:17]
	;; [unrolled: 1-line block ×8, first 2 shown]
	v_fma_f64 v[20:21], v[20:21], -0.5, v[2:3]
	v_fma_f64 v[2:3], v[22:23], -0.5, v[2:3]
	v_add_f64_e64 v[22:23], v[10:11], -v[14:15]
	v_fma_f64 v[24:25], v[24:25], -0.5, v[0:1]
	v_add_f64_e32 v[8:9], v[34:35], v[8:9]
	v_fma_f64 v[0:1], v[26:27], -0.5, v[0:1]
	v_add_f64_e64 v[26:27], v[10:11], -v[6:7]
	v_add_f64_e64 v[6:7], v[6:7], -v[10:11]
	v_add_f64_e32 v[10:11], v[32:33], v[10:11]
	v_fma_f64 v[32:33], v[28:29], s[6:7], v[20:21]
	v_fma_f64 v[20:21], v[28:29], s[2:3], v[20:21]
	;; [unrolled: 1-line block ×8, first 2 shown]
	v_add_f64_e32 v[26:27], v[26:27], v[38:39]
	v_add_f64_e32 v[38:39], v[6:7], v[40:41]
	;; [unrolled: 1-line block ×6, first 2 shown]
	v_fma_f64 v[8:9], v[30:31], s[14:15], v[32:33]
	v_fma_f64 v[10:11], v[30:31], s[12:13], v[20:21]
	;; [unrolled: 1-line block ×8, first 2 shown]
	v_add_f64_e32 v[2:3], v[4:5], v[18:19]
	v_add_f64_e32 v[0:1], v[6:7], v[16:17]
	v_fma_f64 v[6:7], v[26:27], s[16:17], v[8:9]
	v_fma_f64 v[10:11], v[26:27], s[16:17], v[10:11]
	;; [unrolled: 1-line block ×8, first 2 shown]
	v_lshl_add_u32 v20, v52, 4, 0
	ds_store_b128 v20, v[0:3] offset:8800
	ds_store_b128 v20, v[16:19] offset:8976
	;; [unrolled: 1-line block ×5, first 2 shown]
.LBB0_17:
	s_wait_alu 0xfffe
	s_or_b32 exec_lo, exec_lo, s1
	global_wb scope:SCOPE_SE
	s_wait_dscnt 0x0
	s_barrier_signal -1
	s_barrier_wait -1
	global_inv scope:SCOPE_SE
	s_and_saveexec_b32 s0, vcc_lo
	s_cbranch_execz .LBB0_19
; %bb.18:
	v_add_nc_u32_e32 v126, 0x6e, v74
	v_add_nc_u32_e32 v127, 0xa5, v74
	;; [unrolled: 1-line block ×3, first 2 shown]
	v_mad_co_u64_u32 v[91:92], null, s8, v74, 0
	s_delay_alu instid0(VALU_DEP_4) | instskip(NEXT) | instid1(VALU_DEP_4)
	v_mad_co_u64_u32 v[93:94], null, s8, v126, 0
	v_mad_co_u64_u32 v[95:96], null, s8, v127, 0
	s_delay_alu instid0(VALU_DEP_4)
	v_mad_co_u64_u32 v[121:122], null, s8, v134, 0
	v_add_nc_u32_e32 v133, 0x1ef, v74
	v_mul_u32_u24_e32 v0, 10, v60
	v_mad_co_u64_u32 v[123:124], null, s9, v74, v[92:93]
	v_mov_b32_e32 v92, v96
	v_add_nc_u32_e32 v132, 0x1b8, v74
	v_mov_b32_e32 v96, v122
	v_mad_co_u64_u32 v[119:120], null, s8, v133, 0
	v_add_nc_u32_e32 v131, 0x181, v74
	s_delay_alu instid0(VALU_DEP_4) | instskip(SKIP_2) | instid1(VALU_DEP_4)
	v_mad_co_u64_u32 v[101:102], null, s8, v132, 0
	v_add_nc_u32_e32 v129, 0x113, v74
	v_add_nc_u32_e32 v130, 0x14a, v74
	v_mad_co_u64_u32 v[99:100], null, s8, v131, 0
	v_lshlrev_b32_e32 v8, 4, v0
	s_clause 0x9
	global_load_b128 v[36:39], v8, s[4:5] offset:704
	global_load_b128 v[32:35], v8, s[4:5] offset:720
	;; [unrolled: 1-line block ×10, first 2 shown]
	ds_load_b128 v[64:67], v63
	ds_load_b128 v[40:43], v75 offset:4400
	ds_load_b128 v[48:51], v75 offset:3520
	;; [unrolled: 1-line block ×7, first 2 shown]
	ds_load_b128 v[68:71], v75
	ds_load_b128 v[81:84], v76
	ds_load_b128 v[85:88], v75 offset:8800
	v_add_nc_u32_e32 v125, 55, v74
	s_mov_b32 s18, 0xbb3a28a1
	s_mov_b32 s22, 0xfd768dbf
	;; [unrolled: 1-line block ×10, first 2 shown]
	s_wait_alu 0xfffe
	s_mov_b32 s26, s12
	s_mov_b32 s15, 0xbfefac9e
	;; [unrolled: 1-line block ×14, first 2 shown]
	s_wait_loadcnt_dscnt 0x90a
	v_mul_f64_e32 v[89:90], v[64:65], v[38:39]
	v_mul_f64_e32 v[75:76], v[38:39], v[66:67]
	s_wait_loadcnt_dscnt 0x801
	v_mul_f64_e32 v[97:98], v[81:82], v[34:35]
	v_mul_f64_e32 v[34:35], v[34:35], v[83:84]
	s_wait_loadcnt 0x6
	v_mul_f64_e32 v[105:106], v[30:31], v[79:80]
	v_mul_f64_e32 v[103:104], v[6:7], v[50:51]
	s_wait_loadcnt 0x5
	v_mul_f64_e32 v[107:108], v[26:27], v[62:63]
	v_mul_f64_e32 v[30:31], v[77:78], v[30:31]
	;; [unrolled: 1-line block ×3, first 2 shown]
	s_wait_loadcnt 0x4
	v_mul_f64_e32 v[109:110], v[2:3], v[54:55]
	s_wait_loadcnt_dscnt 0x300
	v_mul_f64_e32 v[111:112], v[22:23], v[87:88]
	v_mul_f64_e32 v[22:23], v[85:86], v[22:23]
	s_wait_loadcnt 0x2
	v_mul_f64_e32 v[113:114], v[18:19], v[58:59]
	v_mul_f64_e32 v[6:7], v[48:49], v[6:7]
	;; [unrolled: 1-line block ×3, first 2 shown]
	s_wait_loadcnt 0x1
	v_mul_f64_e32 v[115:116], v[14:15], v[42:43]
	s_wait_loadcnt 0x0
	v_mul_f64_e32 v[117:118], v[10:11], v[46:47]
	v_mul_f64_e32 v[14:15], v[40:41], v[14:15]
	;; [unrolled: 1-line block ×4, first 2 shown]
	v_add_co_u32 v38, vcc_lo, s10, v72
	s_wait_alu 0xfffd
	v_add_co_ci_u32_e32 v39, vcc_lo, s11, v73, vcc_lo
	v_fma_f64 v[66:67], v[36:37], v[66:67], -v[89:90]
	v_fma_f64 v[36:37], v[36:37], v[64:65], v[75:76]
	v_fma_f64 v[83:84], v[32:33], v[83:84], -v[97:98]
	v_fma_f64 v[32:33], v[32:33], v[81:82], v[34:35]
	v_fma_f64 v[77:78], v[28:29], v[77:78], v[105:106]
	;; [unrolled: 1-line block ×4, first 2 shown]
	v_fma_f64 v[28:29], v[28:29], v[79:80], -v[30:31]
	v_fma_f64 v[24:25], v[24:25], v[62:63], -v[26:27]
	v_fma_f64 v[26:27], v[0:1], v[52:53], v[109:110]
	v_fma_f64 v[30:31], v[20:21], v[85:86], v[111:112]
	v_fma_f64 v[52:53], v[20:21], v[87:88], -v[22:23]
	v_fma_f64 v[20:21], v[16:17], v[56:57], v[113:114]
	v_fma_f64 v[4:5], v[4:5], v[50:51], -v[6:7]
	v_fma_f64 v[6:7], v[16:17], v[58:59], -v[18:19]
	v_fma_f64 v[16:17], v[12:13], v[40:41], v[115:116]
	v_fma_f64 v[18:19], v[8:9], v[44:45], v[117:118]
	v_fma_f64 v[12:13], v[12:13], v[42:43], -v[14:15]
	v_fma_f64 v[8:9], v[8:9], v[46:47], -v[10:11]
	v_mov_b32_e32 v82, v102
	v_mad_co_u64_u32 v[64:65], null, s8, v129, 0
	v_fma_f64 v[0:1], v[0:1], v[54:55], -v[2:3]
	v_mad_co_u64_u32 v[75:76], null, s8, v130, 0
	v_mov_b32_e32 v81, v100
	v_mad_co_u64_u32 v[14:15], null, s9, v127, v[92:93]
	v_mov_b32_e32 v92, v123
	v_add_f64_e32 v[97:98], v[70:71], v[66:67]
	v_add_f64_e32 v[34:35], v[36:37], v[68:69]
	v_mad_co_u64_u32 v[2:3], null, s9, v129, v[65:66]
	v_add_nc_u32_e32 v128, 0xdc, v74
	v_mad_co_u64_u32 v[42:43], null, s9, v130, v[76:77]
	v_mov_b32_e32 v74, v94
	v_mov_b32_e32 v94, v120
	v_mad_co_u64_u32 v[43:44], null, s9, v131, v[81:82]
	v_mov_b32_e32 v65, v2
	v_mad_co_u64_u32 v[89:90], null, s8, v128, 0
	v_mad_co_u64_u32 v[44:45], null, s9, v132, v[82:83]
	;; [unrolled: 1-line block ×3, first 2 shown]
	v_add_f64_e64 v[2:3], v[77:78], -v[60:61]
	v_add_f64_e64 v[50:51], v[66:67], -v[52:53]
	v_mad_co_u64_u32 v[22:23], null, s9, v128, v[90:91]
	v_add_f64_e64 v[54:55], v[48:49], -v[20:21]
	v_add_f64_e64 v[56:57], v[4:5], -v[6:7]
	v_mov_b32_e32 v76, v42
	v_mov_b32_e32 v100, v43
	v_add_f64_e64 v[42:43], v[16:17], -v[18:19]
	v_add_f64_e64 v[58:59], v[12:13], -v[8:9]
	v_mov_b32_e32 v90, v22
	v_add_f64_e64 v[22:23], v[28:29], -v[24:25]
	v_mad_co_u64_u32 v[72:73], null, s8, v125, 0
	v_mov_b32_e32 v120, v45
	v_mov_b32_e32 v102, v44
	v_lshlrev_b64_e32 v[44:45], 4, v[91:92]
	v_add_f64_e64 v[79:80], v[83:84], -v[0:1]
	v_lshlrev_b64_e32 v[81:82], 4, v[89:90]
	v_lshlrev_b64_e32 v[89:90], 4, v[119:120]
	v_add_f64_e32 v[40:41], v[83:84], v[97:98]
	v_add_f64_e32 v[34:35], v[32:33], v[34:35]
	v_mad_co_u64_u32 v[46:47], null, s9, v134, v[96:97]
	v_mov_b32_e32 v96, v14
	v_add_f64_e64 v[14:15], v[36:37], -v[30:31]
	v_mad_co_u64_u32 v[124:125], null, s9, v125, v[73:74]
	v_add_f64_e32 v[66:67], v[66:67], v[52:53]
	v_add_f64_e32 v[36:37], v[36:37], v[30:31]
	v_mov_b32_e32 v122, v46
	v_lshlrev_b64_e32 v[85:86], 4, v[99:100]
	v_add_f64_e32 v[83:84], v[83:84], v[0:1]
	v_add_f64_e32 v[99:100], v[16:17], v[18:19]
	v_mov_b32_e32 v73, v124
	v_mad_co_u64_u32 v[10:11], null, s9, v126, v[74:75]
	v_lshlrev_b64_e32 v[91:92], 4, v[121:122]
	v_mul_f64_e32 v[127:128], s[16:17], v[2:3]
	v_mul_f64_e32 v[109:110], s[22:23], v[50:51]
	s_wait_alu 0xfffe
	v_mul_f64_e32 v[133:134], s[26:27], v[50:51]
	v_mul_f64_e32 v[117:118], s[18:19], v[50:51]
	;; [unrolled: 1-line block ×3, first 2 shown]
	v_mov_b32_e32 v94, v10
	v_add_f64_e64 v[10:11], v[32:33], -v[26:27]
	v_mul_f64_e32 v[113:114], s[16:17], v[56:57]
	v_mul_f64_e32 v[119:120], s[16:17], v[42:43]
	;; [unrolled: 1-line block ×3, first 2 shown]
	v_lshlrev_b64_e32 v[62:63], 4, v[93:94]
	v_add_f64_e32 v[93:94], v[4:5], v[6:7]
	v_mul_f64_e32 v[129:130], s[16:17], v[22:23]
	s_mov_b32 s17, 0xbfed1bb4
	v_mul_f64_e32 v[125:126], s[14:15], v[50:51]
	s_wait_alu 0xfffe
	v_mul_f64_e32 v[50:51], s[16:17], v[50:51]
	v_add_f64_e32 v[32:33], v[32:33], v[26:27]
	v_mul_f64_e32 v[135:136], s[12:13], v[79:80]
	v_lshlrev_b64_e32 v[46:47], 4, v[72:73]
	v_lshlrev_b64_e32 v[72:73], 4, v[95:96]
	v_add_f64_e32 v[40:41], v[28:29], v[40:41]
	v_add_f64_e32 v[34:35], v[77:78], v[34:35]
	v_lshlrev_b64_e32 v[74:75], 4, v[75:76]
	v_add_f64_e32 v[76:77], v[77:78], v[60:61]
	v_add_f64_e32 v[95:96], v[48:49], v[20:21]
	v_mul_f64_e32 v[105:106], s[22:23], v[14:15]
	v_mul_f64_e32 v[115:116], s[18:19], v[14:15]
	v_mul_f64_e32 v[131:132], s[26:27], v[14:15]
	v_mul_f64_e32 v[123:124], s[14:15], v[14:15]
	v_mul_f64_e32 v[14:15], s[16:17], v[14:15]
	v_mul_f64_e32 v[147:148], s[24:25], v[79:80]
	v_mul_f64_e32 v[149:150], s[28:29], v[79:80]
	v_mul_f64_e32 v[151:152], s[18:19], v[79:80]
	v_mul_f64_e32 v[78:79], s[16:17], v[79:80]
	v_add_f64_e32 v[97:98], v[12:13], v[8:9]
	v_lshlrev_b64_e32 v[87:88], 4, v[101:102]
	v_add_f64_e32 v[28:29], v[28:29], v[24:25]
	v_mul_f64_e32 v[101:102], s[18:19], v[2:3]
	v_mul_f64_e32 v[107:108], s[18:19], v[22:23]
	v_fma_f64 v[183:184], v[36:37], s[20:21], -v[109:110]
	v_fma_f64 v[109:110], v[36:37], s[20:21], v[109:110]
	v_fma_f64 v[191:192], v[36:37], s[2:3], -v[133:134]
	v_fma_f64 v[133:134], v[36:37], s[2:3], v[133:134]
	v_mul_f64_e32 v[137:138], s[26:27], v[2:3]
	v_mul_f64_e32 v[103:104], s[12:13], v[10:11]
	;; [unrolled: 1-line block ×9, first 2 shown]
	v_fma_f64 v[187:188], v[36:37], s[6:7], -v[125:126]
	v_fma_f64 v[125:126], v[36:37], s[6:7], v[125:126]
	v_fma_f64 v[201:202], v[36:37], s[4:5], -v[50:51]
	v_fma_f64 v[209:210], v[32:33], s[2:3], -v[135:136]
	v_fma_f64 v[135:136], v[32:33], s[2:3], v[135:136]
	v_mul_f64_e32 v[157:158], s[26:27], v[54:55]
	v_add_f64_e32 v[4:5], v[4:5], v[40:41]
	v_add_f64_e32 v[34:35], v[48:49], v[34:35]
	v_mul_f64_e32 v[48:49], s[18:19], v[10:11]
	v_mul_f64_e32 v[10:11], s[16:17], v[10:11]
	;; [unrolled: 1-line block ×3, first 2 shown]
	v_fma_f64 v[179:180], v[66:67], s[20:21], v[105:106]
	v_fma_f64 v[105:106], v[66:67], s[20:21], -v[105:106]
	v_fma_f64 v[185:186], v[66:67], s[0:1], v[115:116]
	v_fma_f64 v[115:116], v[66:67], s[0:1], -v[115:116]
	;; [unrolled: 2-line block ×4, first 2 shown]
	v_mul_f64_e32 v[22:23], s[14:15], v[22:23]
	v_fma_f64 v[211:212], v[32:33], s[6:7], -v[147:148]
	v_fma_f64 v[147:148], v[32:33], s[6:7], v[147:148]
	v_mul_f64_e32 v[159:160], s[26:27], v[56:57]
	v_fma_f64 v[175:176], v[28:29], s[0:1], v[101:102]
	v_fma_f64 v[181:182], v[76:77], s[0:1], -v[107:108]
	v_add_f64_e32 v[183:184], v[68:69], v[183:184]
	v_add_f64_e32 v[109:110], v[68:69], v[109:110]
	;; [unrolled: 1-line block ×4, first 2 shown]
	v_fma_f64 v[101:102], v[28:29], s[0:1], -v[101:102]
	v_fma_f64 v[177:178], v[83:84], s[2:3], v[103:104]
	v_fma_f64 v[103:104], v[83:84], s[2:3], -v[103:104]
	v_fma_f64 v[195:196], v[83:84], s[6:7], v[139:140]
	;; [unrolled: 2-line block ×3, first 2 shown]
	v_fma_f64 v[193:194], v[28:29], s[2:3], v[137:138]
	v_fma_f64 v[137:138], v[28:29], s[2:3], -v[137:138]
	v_mul_f64_e32 v[161:162], s[24:25], v[54:55]
	v_add_f64_e32 v[187:188], v[68:69], v[187:188]
	v_add_f64_e32 v[125:126], v[68:69], v[125:126]
	;; [unrolled: 1-line block ×3, first 2 shown]
	v_mul_f64_e32 v[163:164], s[24:25], v[56:57]
	v_mul_f64_e32 v[54:55], s[18:19], v[54:55]
	;; [unrolled: 1-line block ×3, first 2 shown]
	v_add_f64_e32 v[4:5], v[12:13], v[4:5]
	v_add_f64_e32 v[16:17], v[16:17], v[34:35]
	v_fma_f64 v[12:13], v[36:37], s[0:1], -v[117:118]
	v_fma_f64 v[117:118], v[36:37], s[0:1], v[117:118]
	v_fma_f64 v[36:37], v[36:37], s[4:5], v[50:51]
	;; [unrolled: 1-line block ×3, first 2 shown]
	v_fma_f64 v[123:124], v[66:67], s[6:7], -v[123:124]
	v_add_f64_e32 v[105:106], v[70:71], v[105:106]
	v_add_f64_e32 v[185:186], v[70:71], v[185:186]
	;; [unrolled: 1-line block ×4, first 2 shown]
	v_fma_f64 v[207:208], v[83:84], s[0:1], v[48:49]
	v_fma_f64 v[48:49], v[83:84], s[0:1], -v[48:49]
	v_add_f64_e32 v[14:15], v[70:71], v[14:15]
	v_fma_f64 v[66:67], v[83:84], s[20:21], v[141:142]
	v_fma_f64 v[141:142], v[83:84], s[20:21], -v[141:142]
	v_add_f64_e32 v[179:180], v[70:71], v[179:180]
	v_add_f64_e32 v[189:190], v[70:71], v[189:190]
	;; [unrolled: 1-line block ×3, first 2 shown]
	v_fma_f64 v[50:51], v[28:29], s[4:5], v[127:128]
	v_add_f64_e32 v[109:110], v[135:136], v[109:110]
	v_fma_f64 v[127:128], v[28:29], s[4:5], -v[127:128]
	v_fma_f64 v[205:206], v[28:29], s[20:21], v[143:144]
	v_fma_f64 v[143:144], v[28:29], s[20:21], -v[143:144]
	v_fma_f64 v[203:204], v[76:77], s[4:5], -v[129:130]
	v_fma_f64 v[129:130], v[76:77], s[4:5], v[129:130]
	v_fma_f64 v[197:198], v[76:77], s[2:3], -v[40:41]
	v_fma_f64 v[40:41], v[76:77], s[2:3], v[40:41]
	v_add_f64_e32 v[183:184], v[209:210], v[183:184]
	v_mul_f64_e32 v[165:166], s[14:15], v[42:43]
	v_mul_f64_e32 v[167:168], s[14:15], v[58:59]
	;; [unrolled: 1-line block ×6, first 2 shown]
	v_fma_f64 v[209:210], v[95:96], s[4:5], -v[113:114]
	v_fma_f64 v[113:114], v[95:96], s[4:5], v[113:114]
	v_fma_f64 v[135:136], v[95:96], s[20:21], -v[155:156]
	v_add_f64_e32 v[4:5], v[8:9], v[4:5]
	v_add_f64_e32 v[16:17], v[18:19], v[16:17]
	v_fma_f64 v[8:9], v[83:84], s[4:5], -v[10:11]
	v_fma_f64 v[18:19], v[32:33], s[4:5], v[78:79]
	v_add_f64_e32 v[12:13], v[68:69], v[12:13]
	v_add_f64_e32 v[117:118], v[68:69], v[117:118]
	;; [unrolled: 1-line block ×3, first 2 shown]
	v_fma_f64 v[68:69], v[32:33], s[0:1], v[151:152]
	v_add_f64_e32 v[34:35], v[70:71], v[34:35]
	v_add_f64_e32 v[123:124], v[70:71], v[123:124]
	v_fma_f64 v[70:71], v[32:33], s[20:21], v[149:150]
	v_fma_f64 v[149:150], v[32:33], s[20:21], -v[149:150]
	v_fma_f64 v[78:79], v[32:33], s[4:5], -v[78:79]
	;; [unrolled: 1-line block ×3, first 2 shown]
	v_fma_f64 v[10:11], v[83:84], s[4:5], v[10:11]
	v_add_f64_e32 v[103:104], v[103:104], v[105:106]
	v_add_f64_e32 v[185:186], v[195:196], v[185:186]
	;; [unrolled: 1-line block ×3, first 2 shown]
	v_fma_f64 v[151:152], v[28:29], s[6:7], v[2:3]
	v_fma_f64 v[2:3], v[28:29], s[6:7], -v[2:3]
	v_fma_f64 v[28:29], v[76:77], s[6:7], -v[22:23]
	v_fma_f64 v[22:23], v[76:77], s[6:7], v[22:23]
	v_fma_f64 v[83:84], v[76:77], s[20:21], -v[145:146]
	v_fma_f64 v[145:146], v[76:77], s[20:21], v[145:146]
	v_add_f64_e32 v[14:15], v[48:49], v[14:15]
	v_add_f64_e32 v[177:178], v[177:178], v[179:180]
	v_fma_f64 v[179:180], v[93:94], s[4:5], v[111:112]
	v_fma_f64 v[111:112], v[93:94], s[4:5], -v[111:112]
	v_fma_f64 v[105:106], v[93:94], s[20:21], v[153:154]
	v_fma_f64 v[153:154], v[93:94], s[20:21], -v[153:154]
	v_mul_f64_e32 v[76:77], s[12:13], v[58:59]
	v_mul_f64_e32 v[58:59], s[22:23], v[58:59]
	v_fma_f64 v[139:140], v[93:94], s[6:7], -v[161:162]
	v_fma_f64 v[155:156], v[95:96], s[20:21], v[155:156]
	v_lshlrev_b64_e32 v[64:65], 4, v[64:65]
	v_add_f64_e32 v[4:5], v[6:7], v[4:5]
	v_add_f64_e32 v[6:7], v[20:21], v[16:17]
	;; [unrolled: 1-line block ×6, first 2 shown]
	v_fma_f64 v[131:132], v[93:94], s[6:7], v[161:162]
	v_add_f64_e32 v[16:17], v[68:69], v[36:37]
	v_add_f64_e32 v[34:35], v[66:67], v[34:35]
	;; [unrolled: 1-line block ×13, first 2 shown]
	v_fma_f64 v[68:69], v[93:94], s[2:3], v[157:158]
	v_fma_f64 v[78:79], v[93:94], s[2:3], -v[157:158]
	v_fma_f64 v[147:148], v[93:94], s[0:1], v[54:55]
	v_fma_f64 v[54:55], v[93:94], s[0:1], -v[54:55]
	v_fma_f64 v[93:94], v[95:96], s[0:1], -v[56:57]
	v_fma_f64 v[56:57], v[95:96], s[0:1], v[56:57]
	v_fma_f64 v[141:142], v[95:96], s[6:7], v[163:164]
	v_add_f64_e32 v[14:15], v[143:144], v[14:15]
	v_fma_f64 v[125:126], v[95:96], s[2:3], v[159:160]
	v_fma_f64 v[133:134], v[95:96], s[6:7], -v[163:164]
	v_add_f64_e32 v[161:162], v[175:176], v[177:178]
	v_add_f64_e32 v[163:164], v[181:182], v[183:184]
	v_fma_f64 v[70:71], v[95:96], s[2:3], -v[159:160]
	v_fma_f64 v[157:158], v[97:98], s[6:7], -v[165:166]
	v_fma_f64 v[159:160], v[99:100], s[6:7], v[167:168]
	v_fma_f64 v[95:96], v[97:98], s[6:7], v[165:166]
	v_fma_f64 v[149:150], v[99:100], s[6:7], -v[167:168]
	v_add_f64_e32 v[4:5], v[24:25], v[4:5]
	v_add_f64_e32 v[6:7], v[60:61], v[6:7]
	;; [unrolled: 1-line block ×6, first 2 shown]
	v_fma_f64 v[117:118], v[99:100], s[0:1], v[171:172]
	v_add_f64_e32 v[16:17], v[145:146], v[16:17]
	v_fma_f64 v[60:61], v[97:98], s[0:1], v[169:170]
	v_add_f64_e32 v[115:116], v[127:128], v[123:124]
	v_add_f64_e32 v[18:19], v[129:130], v[20:21]
	;; [unrolled: 1-line block ×11, first 2 shown]
	v_fma_f64 v[127:128], v[97:98], s[20:21], v[42:43]
	v_fma_f64 v[129:130], v[99:100], s[20:21], -v[58:59]
	v_fma_f64 v[42:43], v[97:98], s[20:21], -v[42:43]
	v_fma_f64 v[58:59], v[99:100], s[20:21], v[58:59]
	v_fma_f64 v[36:37], v[99:100], s[4:5], -v[121:122]
	v_fma_f64 v[50:51], v[99:100], s[4:5], v[121:122]
	v_fma_f64 v[121:122], v[99:100], s[2:3], -v[76:77]
	v_fma_f64 v[123:124], v[97:98], s[2:3], -v[173:174]
	v_fma_f64 v[76:77], v[99:100], s[2:3], v[76:77]
	v_add_f64_e32 v[103:104], v[113:114], v[103:104]
	v_add_f64_e32 v[113:114], v[139:140], v[14:15]
	v_fma_f64 v[83:84], v[97:98], s[0:1], -v[169:170]
	v_fma_f64 v[48:49], v[97:98], s[4:5], -v[119:120]
	v_fma_f64 v[34:35], v[97:98], s[4:5], v[119:120]
	v_fma_f64 v[66:67], v[99:100], s[0:1], -v[171:172]
	v_fma_f64 v[119:120], v[97:98], s[2:3], v[173:174]
	v_add_f64_e32 v[97:98], v[179:180], v[161:162]
	v_add_f64_e32 v[99:100], v[209:210], v[163:164]
	;; [unrolled: 1-line block ×8, first 2 shown]
	v_add_co_u32 v135, vcc_lo, v38, v44
	v_add_f64_e32 v[16:17], v[141:142], v[16:17]
	v_add_f64_e32 v[78:79], v[78:79], v[115:116]
	;; [unrolled: 1-line block ×10, first 2 shown]
	s_wait_alu 0xfffd
	v_add_co_ci_u32_e32 v136, vcc_lo, v39, v45, vcc_lo
	v_add_co_u32 v137, vcc_lo, v38, v46
	s_wait_alu 0xfffd
	v_add_co_ci_u32_e32 v138, vcc_lo, v39, v47, vcc_lo
	v_add_co_u32 v62, vcc_lo, v38, v62
	s_wait_alu 0xfffd
	v_add_co_ci_u32_e32 v63, vcc_lo, v39, v63, vcc_lo
	v_add_co_u32 v72, vcc_lo, v38, v72
	v_add_f64_e32 v[4:5], v[159:160], v[103:104]
	s_wait_alu 0xfffd
	v_add_co_ci_u32_e32 v73, vcc_lo, v39, v73, vcc_lo
	v_add_f64_e32 v[14:15], v[48:49], v[107:108]
	v_add_f64_e32 v[10:11], v[34:35], v[105:106]
	;; [unrolled: 1-line block ×11, first 2 shown]
	v_add_co_u32 v36, vcc_lo, v38, v81
	v_add_f64_e32 v[28:29], v[76:77], v[16:17]
	v_add_f64_e32 v[18:19], v[83:84], v[78:79]
	;; [unrolled: 1-line block ×9, first 2 shown]
	s_wait_alu 0xfffd
	v_add_co_ci_u32_e32 v37, vcc_lo, v39, v82, vcc_lo
	v_add_co_u32 v48, vcc_lo, v38, v64
	s_wait_alu 0xfffd
	v_add_co_ci_u32_e32 v49, vcc_lo, v39, v65, vcc_lo
	v_add_co_u32 v50, vcc_lo, v38, v74
	;; [unrolled: 3-line block ×6, first 2 shown]
	s_wait_alu 0xfffd
	v_add_co_ci_u32_e32 v39, vcc_lo, v39, v92, vcc_lo
	s_clause 0xa
	global_store_b128 v[135:136], v[24:27], off
	global_store_b128 v[137:138], v[20:23], off
	;; [unrolled: 1-line block ×11, first 2 shown]
.LBB0_19:
	s_nop 0
	s_sendmsg sendmsg(MSG_DEALLOC_VGPRS)
	s_endpgm
	.section	.rodata,"a",@progbits
	.p2align	6, 0x0
	.amdhsa_kernel fft_rtc_back_len605_factors_11_5_11_wgs_55_tpt_55_dp_ip_CI_sbrr_dirReg
		.amdhsa_group_segment_fixed_size 0
		.amdhsa_private_segment_fixed_size 0
		.amdhsa_kernarg_size 88
		.amdhsa_user_sgpr_count 2
		.amdhsa_user_sgpr_dispatch_ptr 0
		.amdhsa_user_sgpr_queue_ptr 0
		.amdhsa_user_sgpr_kernarg_segment_ptr 1
		.amdhsa_user_sgpr_dispatch_id 0
		.amdhsa_user_sgpr_private_segment_size 0
		.amdhsa_wavefront_size32 1
		.amdhsa_uses_dynamic_stack 0
		.amdhsa_enable_private_segment 0
		.amdhsa_system_sgpr_workgroup_id_x 1
		.amdhsa_system_sgpr_workgroup_id_y 0
		.amdhsa_system_sgpr_workgroup_id_z 0
		.amdhsa_system_sgpr_workgroup_info 0
		.amdhsa_system_vgpr_workitem_id 0
		.amdhsa_next_free_vgpr 213
		.amdhsa_next_free_sgpr 35
		.amdhsa_reserve_vcc 1
		.amdhsa_float_round_mode_32 0
		.amdhsa_float_round_mode_16_64 0
		.amdhsa_float_denorm_mode_32 3
		.amdhsa_float_denorm_mode_16_64 3
		.amdhsa_fp16_overflow 0
		.amdhsa_workgroup_processor_mode 1
		.amdhsa_memory_ordered 1
		.amdhsa_forward_progress 0
		.amdhsa_round_robin_scheduling 0
		.amdhsa_exception_fp_ieee_invalid_op 0
		.amdhsa_exception_fp_denorm_src 0
		.amdhsa_exception_fp_ieee_div_zero 0
		.amdhsa_exception_fp_ieee_overflow 0
		.amdhsa_exception_fp_ieee_underflow 0
		.amdhsa_exception_fp_ieee_inexact 0
		.amdhsa_exception_int_div_zero 0
	.end_amdhsa_kernel
	.text
.Lfunc_end0:
	.size	fft_rtc_back_len605_factors_11_5_11_wgs_55_tpt_55_dp_ip_CI_sbrr_dirReg, .Lfunc_end0-fft_rtc_back_len605_factors_11_5_11_wgs_55_tpt_55_dp_ip_CI_sbrr_dirReg
                                        ; -- End function
	.section	.AMDGPU.csdata,"",@progbits
; Kernel info:
; codeLenInByte = 9644
; NumSgprs: 37
; NumVgprs: 213
; ScratchSize: 0
; MemoryBound: 1
; FloatMode: 240
; IeeeMode: 1
; LDSByteSize: 0 bytes/workgroup (compile time only)
; SGPRBlocks: 4
; VGPRBlocks: 26
; NumSGPRsForWavesPerEU: 37
; NumVGPRsForWavesPerEU: 213
; Occupancy: 7
; WaveLimiterHint : 1
; COMPUTE_PGM_RSRC2:SCRATCH_EN: 0
; COMPUTE_PGM_RSRC2:USER_SGPR: 2
; COMPUTE_PGM_RSRC2:TRAP_HANDLER: 0
; COMPUTE_PGM_RSRC2:TGID_X_EN: 1
; COMPUTE_PGM_RSRC2:TGID_Y_EN: 0
; COMPUTE_PGM_RSRC2:TGID_Z_EN: 0
; COMPUTE_PGM_RSRC2:TIDIG_COMP_CNT: 0
	.text
	.p2alignl 7, 3214868480
	.fill 96, 4, 3214868480
	.type	__hip_cuid_37f3f06a1a61626b,@object ; @__hip_cuid_37f3f06a1a61626b
	.section	.bss,"aw",@nobits
	.globl	__hip_cuid_37f3f06a1a61626b
__hip_cuid_37f3f06a1a61626b:
	.byte	0                               ; 0x0
	.size	__hip_cuid_37f3f06a1a61626b, 1

	.ident	"AMD clang version 19.0.0git (https://github.com/RadeonOpenCompute/llvm-project roc-6.4.0 25133 c7fe45cf4b819c5991fe208aaa96edf142730f1d)"
	.section	".note.GNU-stack","",@progbits
	.addrsig
	.addrsig_sym __hip_cuid_37f3f06a1a61626b
	.amdgpu_metadata
---
amdhsa.kernels:
  - .args:
      - .actual_access:  read_only
        .address_space:  global
        .offset:         0
        .size:           8
        .value_kind:     global_buffer
      - .offset:         8
        .size:           8
        .value_kind:     by_value
      - .actual_access:  read_only
        .address_space:  global
        .offset:         16
        .size:           8
        .value_kind:     global_buffer
      - .actual_access:  read_only
        .address_space:  global
        .offset:         24
        .size:           8
        .value_kind:     global_buffer
      - .offset:         32
        .size:           8
        .value_kind:     by_value
      - .actual_access:  read_only
        .address_space:  global
        .offset:         40
        .size:           8
        .value_kind:     global_buffer
      - .actual_access:  read_only
        .address_space:  global
        .offset:         48
        .size:           8
        .value_kind:     global_buffer
      - .offset:         56
        .size:           4
        .value_kind:     by_value
      - .actual_access:  read_only
        .address_space:  global
        .offset:         64
        .size:           8
        .value_kind:     global_buffer
      - .actual_access:  read_only
        .address_space:  global
        .offset:         72
        .size:           8
        .value_kind:     global_buffer
      - .address_space:  global
        .offset:         80
        .size:           8
        .value_kind:     global_buffer
    .group_segment_fixed_size: 0
    .kernarg_segment_align: 8
    .kernarg_segment_size: 88
    .language:       OpenCL C
    .language_version:
      - 2
      - 0
    .max_flat_workgroup_size: 55
    .name:           fft_rtc_back_len605_factors_11_5_11_wgs_55_tpt_55_dp_ip_CI_sbrr_dirReg
    .private_segment_fixed_size: 0
    .sgpr_count:     37
    .sgpr_spill_count: 0
    .symbol:         fft_rtc_back_len605_factors_11_5_11_wgs_55_tpt_55_dp_ip_CI_sbrr_dirReg.kd
    .uniform_work_group_size: 1
    .uses_dynamic_stack: false
    .vgpr_count:     213
    .vgpr_spill_count: 0
    .wavefront_size: 32
    .workgroup_processor_mode: 1
amdhsa.target:   amdgcn-amd-amdhsa--gfx1201
amdhsa.version:
  - 1
  - 2
...

	.end_amdgpu_metadata
